;; amdgpu-corpus repo=ROCm/rocFFT kind=compiled arch=gfx906 opt=O3
	.text
	.amdgcn_target "amdgcn-amd-amdhsa--gfx906"
	.amdhsa_code_object_version 6
	.protected	fft_rtc_back_len125_factors_5_5_5_wgs_250_tpt_25_half_op_CI_CI_sbrc_z_xy_unaligned ; -- Begin function fft_rtc_back_len125_factors_5_5_5_wgs_250_tpt_25_half_op_CI_CI_sbrc_z_xy_unaligned
	.globl	fft_rtc_back_len125_factors_5_5_5_wgs_250_tpt_25_half_op_CI_CI_sbrc_z_xy_unaligned
	.p2align	8
	.type	fft_rtc_back_len125_factors_5_5_5_wgs_250_tpt_25_half_op_CI_CI_sbrc_z_xy_unaligned,@function
fft_rtc_back_len125_factors_5_5_5_wgs_250_tpt_25_half_op_CI_CI_sbrc_z_xy_unaligned: ; @fft_rtc_back_len125_factors_5_5_5_wgs_250_tpt_25_half_op_CI_CI_sbrc_z_xy_unaligned
; %bb.0:
	s_load_dwordx8 s[8:15], s[4:5], 0x0
	s_waitcnt lgkmcnt(0)
	s_load_dwordx4 s[0:3], s[12:13], 0x8
	s_load_dwordx2 s[24:25], s[4:5], 0x20
	s_load_dwordx4 s[16:19], s[14:15], 0x0
	s_load_dword s7, s[14:15], 0x10
	s_waitcnt lgkmcnt(0)
	s_add_i32 s1, s0, -1
	s_mul_hi_u32 s1, s1, 0xcccccccd
	s_lshr_b32 s1, s1, 3
	s_add_i32 s3, s1, 1
	s_mul_i32 s2, s3, s2
	v_cvt_f32_u32_e32 v2, s2
	v_cvt_f32_u32_e32 v1, s3
	s_sub_i32 s12, 0, s2
	v_rcp_iflag_f32_e32 v2, v2
	v_rcp_iflag_f32_e32 v1, v1
	v_mul_f32_e32 v2, 0x4f7ffffe, v2
	v_cvt_u32_f32_e32 v2, v2
	v_mul_f32_e32 v1, 0x4f7ffffe, v1
	v_cvt_u32_f32_e32 v1, v1
	v_readfirstlane_b32 s19, v2
	s_mul_i32 s12, s12, s19
	s_mul_hi_u32 s12, s19, s12
	s_add_i32 s19, s19, s12
	s_mul_hi_u32 s12, s6, s19
	s_mul_i32 s19, s12, s2
	s_sub_i32 s19, s6, s19
	s_add_i32 s20, s12, 1
	s_sub_i32 s21, s19, s2
	s_cmp_ge_u32 s19, s2
	s_cselect_b32 s12, s20, s12
	s_cselect_b32 s19, s21, s19
	s_add_i32 s20, s12, 1
	s_cmp_ge_u32 s19, s2
	v_readfirstlane_b32 s13, v1
	s_cselect_b32 s19, s20, s12
	s_not_b32 s1, s1
	s_mul_i32 s1, s1, s13
	s_mul_i32 s2, s19, s2
	s_mul_hi_u32 s1, s13, s1
	s_sub_i32 s2, s6, s2
	s_add_i32 s13, s13, s1
	s_mul_hi_u32 s1, s2, s13
	s_mul_i32 s12, s1, s3
	s_sub_i32 s2, s2, s12
	s_add_i32 s20, s1, 1
	s_sub_i32 s12, s2, s3
	s_cmp_ge_u32 s2, s3
	s_cselect_b32 s1, s20, s1
	s_cselect_b32 s2, s12, s2
	s_add_i32 s12, s1, 1
	s_cmp_ge_u32 s2, s3
	s_cselect_b32 s29, s12, s1
	s_mul_hi_u32 s1, s6, s13
	s_mul_i32 s1, s1, s3
	s_sub_i32 s1, s6, s1
	s_sub_i32 s2, s1, s3
	s_cmp_ge_u32 s1, s3
	s_cselect_b32 s1, s2, s1
	s_sub_i32 s2, s1, s3
	s_cmp_ge_u32 s1, s3
	s_cselect_b32 s28, s2, s1
	s_mul_i32 s28, s28, 10
	s_mul_i32 s1, s29, s7
	;; [unrolled: 1-line block ×3, first 2 shown]
	s_add_i32 s1, s2, s1
	s_lshl_b64 s[6:7], s[10:11], 3
	s_add_u32 s10, s14, s6
	s_addc_u32 s11, s15, s7
	s_load_dwordx2 s[22:23], s[10:11], 0x0
	s_load_dwordx2 s[20:21], s[4:5], 0x58
	s_load_dwordx4 s[12:15], s[24:25], 0x0
	s_load_dwordx2 s[2:3], s[24:25], 0x10
	v_mul_u32_u24_e32 v1, 0x20d, v0
	s_waitcnt lgkmcnt(0)
	s_mul_i32 s3, s23, s19
	s_mul_hi_u32 s10, s22, s19
	s_add_i32 s10, s10, s3
	s_mul_i32 s3, s22, s19
	s_add_u32 s22, s3, s1
	s_addc_u32 s23, s10, 0
	s_add_u32 s6, s24, s6
	s_addc_u32 s7, s25, s7
	s_load_dwordx2 s[6:7], s[6:7], 0x0
	s_add_i32 s1, s28, 10
	s_cmp_le_u32 s1, s0
	v_lshrrev_b32_e32 v3, 16, v1
	s_cselect_b64 s[10:11], -1, 0
	v_mul_lo_u16_e32 v1, 0x7d, v3
	v_sub_u16_e32 v4, v0, v1
	s_mov_b64 s[24:25], -1
	s_and_b64 vcc, exec, s[10:11]
	s_cbranch_vccnz .LBB0_5
; %bb.1:
	v_add_u32_e32 v5, s28, v3
	v_cmp_gt_u32_e32 vcc, s0, v5
	s_and_saveexec_b64 s[24:25], vcc
	s_cbranch_execz .LBB0_4
; %bb.2:
	v_mad_u64_u32 v[1:2], s[26:27], s16, v4, 0
	s_lshl_b64 s[26:27], s[22:23], 2
	s_add_u32 s1, s20, s26
	v_mad_u64_u32 v[6:7], s[30:31], s17, v4, v[2:3]
	s_addc_u32 s3, s21, s27
	v_mov_b32_e32 v7, s3
	v_mov_b32_e32 v2, v6
	v_lshlrev_b64 v[1:2], 2, v[1:2]
	s_mov_b64 s[26:27], 0
	v_add_co_u32_e32 v6, vcc, s1, v1
	v_addc_co_u32_e32 v7, vcc, v7, v2, vcc
	v_mul_u32_u24_e32 v1, 0x1f4, v3
	v_lshlrev_b32_e32 v2, 2, v4
	v_add3_u32 v8, v1, v2, 0
	v_mul_lo_u32 v1, v3, s18
	s_lshl_b32 s1, s18, 1
	v_mov_b32_e32 v2, 0
.LBB0_3:                                ; =>This Inner Loop Header: Depth=1
	v_lshlrev_b64 v[9:10], 2, v[1:2]
	v_add_u32_e32 v5, 2, v5
	v_add_co_u32_e32 v9, vcc, v6, v9
	v_addc_co_u32_e32 v10, vcc, v7, v10, vcc
	global_load_dword v9, v[9:10], off
	v_cmp_le_u32_e32 vcc, s0, v5
	v_add_u32_e32 v1, s1, v1
	s_or_b64 s[26:27], vcc, s[26:27]
	s_waitcnt vmcnt(0)
	ds_write_b32 v8, v9
	v_add_u32_e32 v8, 0x3e8, v8
	s_andn2_b64 exec, exec, s[26:27]
	s_cbranch_execnz .LBB0_3
.LBB0_4:
	s_or_b64 exec, exec, s[24:25]
	s_mov_b64 s[24:25], 0
.LBB0_5:
	s_andn2_b64 vcc, exec, s[24:25]
	s_cbranch_vccnz .LBB0_7
; %bb.6:
	v_mad_u64_u32 v[1:2], s[24:25], s16, v4, 0
	v_mul_lo_u32 v5, s18, v3
	v_mov_b32_e32 v6, 0
	v_mad_u64_u32 v[7:8], s[16:17], s17, v4, v[2:3]
	s_lshl_b64 s[16:17], s[22:23], 2
	s_add_u32 s1, s20, s16
	v_mov_b32_e32 v2, v7
	v_lshlrev_b64 v[1:2], 2, v[1:2]
	s_addc_u32 s3, s21, s17
	v_mov_b32_e32 v7, s3
	v_add_co_u32_e32 v13, vcc, s1, v1
	v_addc_co_u32_e32 v14, vcc, v7, v2, vcc
	v_lshlrev_b64 v[1:2], 2, v[5:6]
	s_lshl_b32 s1, s18, 1
	v_add_u32_e32 v5, s1, v5
	v_add_co_u32_e32 v1, vcc, v13, v1
	v_lshlrev_b64 v[7:8], 2, v[5:6]
	v_addc_co_u32_e32 v2, vcc, v14, v2, vcc
	v_add_u32_e32 v5, s1, v5
	v_add_co_u32_e32 v7, vcc, v13, v7
	v_lshlrev_b64 v[9:10], 2, v[5:6]
	v_addc_co_u32_e32 v8, vcc, v14, v8, vcc
	;; [unrolled: 4-line block ×4, first 2 shown]
	v_add_co_u32_e32 v5, vcc, v13, v5
	v_addc_co_u32_e32 v6, vcc, v14, v6, vcc
	global_load_dword v13, v[1:2], off
	global_load_dword v14, v[7:8], off
	;; [unrolled: 1-line block ×5, first 2 shown]
	v_mul_u32_u24_e32 v1, 0x1f4, v3
	v_lshlrev_b32_e32 v2, 2, v4
	v_add3_u32 v1, 0, v1, v2
	v_add_u32_e32 v2, 0x7c0, v1
	s_waitcnt vmcnt(3)
	ds_write2_b32 v1, v13, v14 offset1:250
	s_waitcnt vmcnt(1)
	ds_write2_b32 v2, v15, v16 offset0:4 offset1:254
	s_waitcnt vmcnt(0)
	ds_write_b32 v1, v17 offset:4000
.LBB0_7:
	s_movk_i32 s1, 0xa3e
	v_mul_u32_u24_sdwa v1, v0, s1 dst_sel:DWORD dst_unused:UNUSED_PAD src0_sel:WORD_0 src1_sel:DWORD
	v_add_u32_sdwa v1, s28, v1 dst_sel:DWORD dst_unused:UNUSED_PAD src0_sel:DWORD src1_sel:WORD_1
	s_mov_b32 s1, 0xcccccccd
	v_mul_hi_u32 v2, v1, s1
	s_mov_b32 s1, 0xa3d70a4
	v_mul_hi_u32 v3, v0, s1
	s_waitcnt lgkmcnt(0)
	v_lshrrev_b32_e32 v2, 3, v2
	v_mul_lo_u32 v2, v2, 10
	v_mul_u32_u24_e32 v3, 25, v3
	v_sub_u32_e32 v5, v0, v3
	s_barrier
	v_sub_u32_e32 v1, v1, v2
	v_mul_u32_u24_e32 v1, 0x7d, v1
	v_lshlrev_b32_e32 v7, 2, v1
	v_lshlrev_b32_e32 v1, 2, v5
	v_add3_u32 v9, 0, v1, v7
	v_add3_u32 v8, 0, v7, v1
	ds_read2_b32 v[1:2], v9 offset0:25 offset1:50
	ds_read2_b32 v[3:4], v9 offset0:75 offset1:100
	ds_read_b32 v6, v8
	s_movk_i32 s1, 0x3b9c
	s_movk_i32 s3, 0x38b4
	s_waitcnt lgkmcnt(2)
	v_pk_add_f16 v11, v1, v2 neg_lo:[0,1] neg_hi:[0,1]
	s_waitcnt lgkmcnt(1)
	v_pk_add_f16 v12, v4, v3 neg_lo:[0,1] neg_hi:[0,1]
	v_pk_add_f16 v10, v2, v3
	v_pk_add_f16 v11, v11, v12
	v_pk_add_f16 v12, v1, v4 neg_lo:[0,1] neg_hi:[0,1]
	s_waitcnt lgkmcnt(0)
	v_pk_fma_f16 v10, v10, 0.5, v6 op_sel_hi:[1,0,1] neg_lo:[1,0,0] neg_hi:[1,0,0]
	v_pk_mul_f16 v13, v12, s1 op_sel_hi:[1,0]
	v_pk_add_f16 v14, v10, v13 op_sel:[0,1] op_sel_hi:[1,0] neg_lo:[0,1] neg_hi:[0,1]
	v_pk_add_f16 v10, v10, v13 op_sel:[0,1] op_sel_hi:[1,0]
	v_pk_add_f16 v13, v2, v3 neg_lo:[0,1] neg_hi:[0,1]
	v_pk_mul_f16 v15, v13, s3 op_sel_hi:[1,0]
	v_pk_add_f16 v14, v14, v15 op_sel:[0,1] op_sel_hi:[1,0] neg_lo:[0,1] neg_hi:[0,1]
	v_pk_add_f16 v10, v10, v15 op_sel:[0,1] op_sel_hi:[1,0]
	v_pk_add_f16 v15, v6, v1
	s_mov_b32 s16, 0xffff
	v_pk_add_f16 v15, v15, v2
	v_pk_add_f16 v15, v15, v3
	s_movk_i32 s15, 0x34f2
	v_bfi_b32 v16, s16, v14, v10
	v_lshlrev_b32_e32 v17, 4, v5
	v_pk_add_f16 v15, v15, v4
	v_pk_fma_f16 v16, v11, s15, v16 op_sel_hi:[1,0,1]
	v_add_u32_e32 v18, v9, v17
	s_barrier
	ds_write2_b32 v18, v15, v16 offset1:1
	v_pk_add_f16 v15, v1, v4
	v_pk_add_f16 v1, v2, v1 neg_lo:[0,1] neg_hi:[0,1]
	v_pk_add_f16 v2, v3, v4 neg_lo:[0,1] neg_hi:[0,1]
	v_pk_fma_f16 v6, v15, 0.5, v6 op_sel_hi:[1,0,1] neg_lo:[1,0,0] neg_hi:[1,0,0]
	v_pk_add_f16 v1, v1, v2
	v_pk_mul_f16 v2, v13, s1 op_sel_hi:[1,0]
	v_pk_add_f16 v3, v6, v2 op_sel:[0,1] op_sel_hi:[1,0]
	v_pk_add_f16 v2, v6, v2 op_sel:[0,1] op_sel_hi:[1,0] neg_lo:[0,1] neg_hi:[0,1]
	v_pk_mul_f16 v4, v12, s3 op_sel_hi:[1,0]
	v_pk_add_f16 v3, v3, v4 op_sel:[0,1] op_sel_hi:[1,0] neg_lo:[0,1] neg_hi:[0,1]
	v_pk_add_f16 v2, v2, v4 op_sel:[0,1] op_sel_hi:[1,0]
	v_bfi_b32 v4, s16, v3, v2
	v_bfi_b32 v2, s16, v2, v3
	v_pk_fma_f16 v3, v1, s15, v4 op_sel_hi:[1,0,1]
	v_pk_fma_f16 v1, v1, s15, v2 op_sel_hi:[1,0,1]
	ds_write2_b32 v18, v3, v1 offset0:2 offset1:3
	v_bfi_b32 v1, s16, v10, v14
	v_pk_fma_f16 v1, v11, s15, v1 op_sel_hi:[1,0,1]
	ds_write_b32 v18, v1 offset:16
	v_mul_lo_u16_e32 v1, 52, v5
	v_lshrrev_b16_e32 v10, 8, v1
	v_mul_lo_u16_e32 v1, 5, v10
	v_sub_u16_e32 v11, v5, v1
	v_mov_b32_e32 v1, 4
	v_lshlrev_b32_sdwa v1, v1, v11 dst_sel:DWORD dst_unused:UNUSED_PAD src0_sel:DWORD src1_sel:BYTE_0
	s_waitcnt lgkmcnt(0)
	s_barrier
	global_load_dwordx4 v[1:4], v1, s[8:9]
	ds_read2_b32 v[5:6], v9 offset0:25 offset1:50
	s_movk_i32 s16, 0x64
	s_mov_b32 s17, 0xb8b4
	s_waitcnt lgkmcnt(0)
	v_lshrrev_b32_e32 v12, 16, v5
	v_lshrrev_b32_e32 v14, 16, v6
	s_waitcnt vmcnt(0)
	v_mul_f16_sdwa v13, v1, v12 dst_sel:DWORD dst_unused:UNUSED_PAD src0_sel:WORD_1 src1_sel:DWORD
	v_mul_f16_sdwa v15, v2, v14 dst_sel:DWORD dst_unused:UNUSED_PAD src0_sel:WORD_1 src1_sel:DWORD
	v_fma_f16 v13, v1, v5, v13
	v_fma_f16 v15, v2, v6, v15
	v_mul_f16_sdwa v16, v1, v5 dst_sel:DWORD dst_unused:UNUSED_PAD src0_sel:WORD_1 src1_sel:DWORD
	v_mul_f16_sdwa v18, v2, v6 dst_sel:DWORD dst_unused:UNUSED_PAD src0_sel:WORD_1 src1_sel:DWORD
	ds_read2_b32 v[5:6], v9 offset0:75 offset1:100
	v_fma_f16 v1, v1, v12, -v16
	v_fma_f16 v2, v2, v14, -v18
	s_waitcnt lgkmcnt(0)
	v_lshrrev_b32_e32 v19, 16, v5
	v_mul_f16_sdwa v20, v3, v19 dst_sel:DWORD dst_unused:UNUSED_PAD src0_sel:WORD_1 src1_sel:DWORD
	v_lshrrev_b32_e32 v21, 16, v6
	v_fma_f16 v20, v3, v5, v20
	v_mul_f16_sdwa v22, v4, v21 dst_sel:DWORD dst_unused:UNUSED_PAD src0_sel:WORD_1 src1_sel:DWORD
	v_mul_f16_sdwa v5, v3, v5 dst_sel:DWORD dst_unused:UNUSED_PAD src0_sel:WORD_1 src1_sel:DWORD
	v_fma_f16 v22, v4, v6, v22
	v_mul_f16_sdwa v6, v4, v6 dst_sel:DWORD dst_unused:UNUSED_PAD src0_sel:WORD_1 src1_sel:DWORD
	v_fma_f16 v3, v3, v19, -v5
	v_mov_b32_e32 v5, 2
	v_fma_f16 v4, v4, v21, -v6
	v_lshlrev_b32_sdwa v5, v5, v11 dst_sel:DWORD dst_unused:UNUSED_PAD src0_sel:DWORD src1_sel:BYTE_0
	v_mad_u32_u24 v6, v10, s16, 0
	v_add3_u32 v5, v6, v5, v7
	v_sub_f16_e32 v6, v13, v15
	v_sub_f16_e32 v7, v22, v20
	v_add_f16_e32 v6, v6, v7
	ds_read_b32 v7, v8
	v_add_f16_e32 v10, v15, v20
	s_mov_b32 s16, 0xbb9c
	v_sub_f16_e32 v11, v1, v4
	v_sub_f16_e32 v14, v2, v3
	s_waitcnt lgkmcnt(0)
	v_fma_f16 v10, v10, -0.5, v7
	v_fma_f16 v12, v11, s16, v10
	v_fma_f16 v10, v11, s1, v10
	;; [unrolled: 1-line block ×6, first 2 shown]
	v_sub_f16_e32 v10, v15, v13
	v_sub_f16_e32 v16, v20, v22
	v_add_f16_e32 v10, v10, v16
	v_add_f16_e32 v16, v13, v22
	v_fma_f16 v16, v16, -0.5, v7
	v_fma_f16 v18, v14, s1, v16
	v_fma_f16 v14, v14, s16, v16
	;; [unrolled: 1-line block ×4, first 2 shown]
	v_add_f16_e32 v7, v13, v7
	v_fma_f16 v14, v10, s15, v16
	v_fma_f16 v10, v10, s15, v11
	v_add_f16_e32 v7, v7, v15
	v_sub_f16_e32 v11, v13, v22
	v_sub_f16_e32 v13, v15, v20
	;; [unrolled: 1-line block ×4, first 2 shown]
	v_add_f16_e32 v15, v15, v16
	ds_read_u16 v16, v8 offset:2
	v_add_f16_e32 v18, v2, v3
	v_add_f16_e32 v7, v7, v20
	;; [unrolled: 1-line block ×3, first 2 shown]
	s_waitcnt lgkmcnt(0)
	v_fma_f16 v18, v18, -0.5, v16
	v_fma_f16 v19, v11, s1, v18
	v_fma_f16 v18, v11, s16, v18
	;; [unrolled: 1-line block ×6, first 2 shown]
	v_add_f16_e32 v18, v1, v4
	v_fma_f16 v18, v18, -0.5, v16
	v_add_f16_e32 v16, v16, v1
	v_add_f16_e32 v16, v16, v2
	v_sub_f16_e32 v1, v2, v1
	v_add_f16_e32 v2, v16, v3
	v_sub_f16_e32 v3, v3, v4
	v_add_f16_e32 v2, v2, v4
	v_add_f16_e32 v1, v1, v3
	v_fma_f16 v3, v13, s16, v18
	v_fma_f16 v4, v13, s1, v18
	;; [unrolled: 1-line block ×6, first 2 shown]
	v_pack_b32_f16 v2, v7, v2
	v_pack_b32_f16 v4, v12, v19
	s_barrier
	ds_write2_b32 v5, v2, v4 offset1:5
	v_pack_b32_f16 v2, v14, v3
	v_pack_b32_f16 v1, v10, v1
	ds_write2_b32 v5, v2, v1 offset0:10 offset1:15
	v_pack_b32_f16 v1, v6, v15
	ds_write_b32 v5, v1 offset:80
	s_waitcnt lgkmcnt(0)
	s_barrier
	global_load_dwordx4 v[1:4], v17, s[8:9] offset:80
	ds_read2_b32 v[5:6], v9 offset0:25 offset1:50
	s_waitcnt lgkmcnt(0)
	v_lshrrev_b32_e32 v7, 16, v5
	v_lshrrev_b32_e32 v10, 16, v6
	s_waitcnt vmcnt(0)
	v_mul_f16_sdwa v11, v1, v7 dst_sel:DWORD dst_unused:UNUSED_PAD src0_sel:WORD_1 src1_sel:DWORD
	v_mul_f16_sdwa v12, v2, v10 dst_sel:DWORD dst_unused:UNUSED_PAD src0_sel:WORD_1 src1_sel:DWORD
	v_fma_f16 v11, v1, v5, v11
	v_fma_f16 v12, v2, v6, v12
	v_mul_f16_sdwa v5, v1, v5 dst_sel:DWORD dst_unused:UNUSED_PAD src0_sel:WORD_1 src1_sel:DWORD
	v_mul_f16_sdwa v6, v2, v6 dst_sel:DWORD dst_unused:UNUSED_PAD src0_sel:WORD_1 src1_sel:DWORD
	v_fma_f16 v5, v1, v7, -v5
	v_fma_f16 v6, v2, v10, -v6
	ds_read2_b32 v[1:2], v9 offset0:75 offset1:100
	s_waitcnt lgkmcnt(0)
	v_lshrrev_b32_e32 v7, 16, v1
	v_mul_f16_sdwa v10, v3, v1 dst_sel:DWORD dst_unused:UNUSED_PAD src0_sel:WORD_1 src1_sel:DWORD
	v_fma_f16 v10, v3, v7, -v10
	v_mul_f16_sdwa v7, v3, v7 dst_sel:DWORD dst_unused:UNUSED_PAD src0_sel:WORD_1 src1_sel:DWORD
	v_fma_f16 v1, v3, v1, v7
	v_lshrrev_b32_e32 v3, 16, v2
	v_mul_f16_sdwa v7, v4, v3 dst_sel:DWORD dst_unused:UNUSED_PAD src0_sel:WORD_1 src1_sel:DWORD
	v_fma_f16 v7, v4, v2, v7
	v_mul_f16_sdwa v2, v4, v2 dst_sel:DWORD dst_unused:UNUSED_PAD src0_sel:WORD_1 src1_sel:DWORD
	v_fma_f16 v2, v4, v3, -v2
	v_sub_f16_e32 v3, v11, v12
	v_sub_f16_e32 v4, v7, v1
	v_add_f16_e32 v3, v3, v4
	ds_read_b32 v4, v8
	v_add_f16_e32 v13, v12, v1
	v_sub_f16_e32 v14, v5, v2
	v_sub_f16_e32 v16, v6, v10
	;; [unrolled: 1-line block ×3, first 2 shown]
	s_waitcnt lgkmcnt(0)
	v_fma_f16 v13, v13, -0.5, v4
	v_fma_f16 v15, v14, s16, v13
	v_fma_f16 v13, v14, s1, v13
	;; [unrolled: 1-line block ×6, first 2 shown]
	v_sub_f16_e32 v13, v12, v11
	v_add_f16_e32 v13, v13, v17
	v_add_f16_e32 v17, v11, v7
	v_fma_f16 v17, v17, -0.5, v4
	v_add_f16_e32 v4, v11, v4
	ds_read_u16 v8, v8 offset:2
	v_add_f16_e32 v4, v4, v12
	v_add_f16_e32 v4, v4, v1
	;; [unrolled: 1-line block ×3, first 2 shown]
	v_sub_f16_e32 v7, v11, v7
	v_sub_f16_e32 v1, v12, v1
	;; [unrolled: 1-line block ×4, first 2 shown]
	v_fma_f16 v18, v16, s1, v17
	v_fma_f16 v16, v16, s16, v17
	v_add_f16_e32 v11, v11, v12
	v_add_f16_e32 v12, v6, v10
	v_fma_f16 v17, v14, s17, v18
	v_fma_f16 v14, v14, s3, v16
	s_waitcnt lgkmcnt(0)
	v_fma_f16 v12, v12, -0.5, v8
	v_fma_f16 v16, v13, s15, v17
	v_fma_f16 v13, v13, s15, v14
	;; [unrolled: 1-line block ×8, first 2 shown]
	v_add_f16_e32 v12, v5, v2
	v_fma_f16 v12, v12, -0.5, v8
	v_add_f16_e32 v8, v8, v5
	v_add_f16_e32 v8, v8, v6
	v_sub_f16_e32 v5, v6, v5
	v_add_f16_e32 v6, v8, v10
	v_add_f16_e32 v6, v6, v2
	v_sub_f16_e32 v2, v10, v2
	v_add_f16_e32 v2, v5, v2
	v_fma_f16 v5, v1, s16, v12
	v_fma_f16 v1, v1, s1, v12
	;; [unrolled: 1-line block ×6, first 2 shown]
	v_pack_b32_f16 v2, v4, v6
	v_pack_b32_f16 v4, v15, v14
	s_barrier
	ds_write2_b32 v9, v2, v4 offset1:25
	v_pack_b32_f16 v2, v16, v5
	v_pack_b32_f16 v1, v13, v1
	ds_write2_b32 v9, v2, v1 offset0:50 offset1:75
	v_pack_b32_f16 v1, v3, v11
	s_mov_b32 s3, 0x1999999a
	ds_write_b32 v9, v1 offset:400
	v_mul_hi_u32 v1, v0, s3
	s_mov_b32 s1, 0
	s_waitcnt lgkmcnt(0)
	s_barrier
	v_mul_u32_u24_e32 v2, 10, v1
	v_sub_u32_e32 v0, v0, v2
	v_add_u32_e32 v2, s28, v0
	v_cmp_gt_u32_e32 vcc, s0, v2
	s_or_b64 s[8:9], s[10:11], vcc
	s_and_saveexec_b64 s[10:11], s[8:9]
	s_cbranch_execz .LBB0_9
; %bb.8:
	s_load_dwordx2 s[4:5], s[4:5], 0x60
	v_mad_u64_u32 v[2:3], s[8:9], s12, v0, 0
	s_mul_i32 s3, s13, s28
	s_mul_hi_u32 s10, s12, s28
	s_add_i32 s9, s10, s3
	s_mul_i32 s8, s12, s28
	s_mul_i32 s3, s7, s19
	s_mul_hi_u32 s7, s6, s19
	s_add_i32 s7, s7, s3
	s_lshl_b64 s[8:9], s[8:9], 2
	s_mul_i32 s0, s29, s14
	v_mad_u64_u32 v[3:4], s[10:11], s13, v0, v[3:4]
	s_waitcnt lgkmcnt(0)
	s_add_u32 s3, s4, s8
	s_addc_u32 s4, s5, s9
	s_lshl_b64 s[0:1], s[0:1], 2
	s_mul_i32 s6, s6, s19
	s_add_u32 s3, s3, s0
	v_mul_lo_u32 v4, v1, s2
	s_addc_u32 s4, s4, s1
	s_lshl_b64 s[0:1], s[6:7], 2
	v_mul_i32_i24_e32 v0, 0x1f4, v0
	v_lshlrev_b32_e32 v1, 2, v1
	s_add_u32 s0, s3, s0
	v_lshlrev_b64 v[2:3], 2, v[2:3]
	v_add3_u32 v6, 0, v0, v1
	s_addc_u32 s1, s4, s1
	v_mov_b32_e32 v5, 0
	ds_read2_b32 v[0:1], v6 offset1:25
	v_mov_b32_e32 v7, s1
	v_add_co_u32_e32 v8, vcc, s0, v2
	v_addc_co_u32_e32 v7, vcc, v7, v3, vcc
	v_lshlrev_b64 v[2:3], 2, v[4:5]
	s_mul_i32 s0, s2, 25
	v_add_co_u32_e32 v2, vcc, v8, v2
	v_addc_co_u32_e32 v3, vcc, v7, v3, vcc
	v_add_u32_e32 v4, s0, v4
	s_waitcnt lgkmcnt(0)
	global_store_dword v[2:3], v0, off
	v_lshlrev_b64 v[2:3], 2, v[4:5]
	v_add_u32_e32 v4, s0, v4
	v_add_co_u32_e32 v2, vcc, v8, v2
	v_addc_co_u32_e32 v3, vcc, v7, v3, vcc
	global_store_dword v[2:3], v1, off
	ds_read2_b32 v[0:1], v6 offset0:50 offset1:75
	v_lshlrev_b64 v[2:3], 2, v[4:5]
	v_add_u32_e32 v4, s0, v4
	v_add_co_u32_e32 v2, vcc, v8, v2
	v_addc_co_u32_e32 v3, vcc, v7, v3, vcc
	s_waitcnt lgkmcnt(0)
	global_store_dword v[2:3], v0, off
	v_lshlrev_b64 v[2:3], 2, v[4:5]
	v_add_u32_e32 v4, s0, v4
	v_add_co_u32_e32 v2, vcc, v8, v2
	v_addc_co_u32_e32 v3, vcc, v7, v3, vcc
	global_store_dword v[2:3], v1, off
	ds_read_b32 v2, v6 offset:400
	v_lshlrev_b64 v[0:1], 2, v[4:5]
	v_add_co_u32_e32 v0, vcc, v8, v0
	v_addc_co_u32_e32 v1, vcc, v7, v1, vcc
	s_waitcnt lgkmcnt(0)
	global_store_dword v[0:1], v2, off
.LBB0_9:
	s_endpgm
	.section	.rodata,"a",@progbits
	.p2align	6, 0x0
	.amdhsa_kernel fft_rtc_back_len125_factors_5_5_5_wgs_250_tpt_25_half_op_CI_CI_sbrc_z_xy_unaligned
		.amdhsa_group_segment_fixed_size 0
		.amdhsa_private_segment_fixed_size 0
		.amdhsa_kernarg_size 104
		.amdhsa_user_sgpr_count 6
		.amdhsa_user_sgpr_private_segment_buffer 1
		.amdhsa_user_sgpr_dispatch_ptr 0
		.amdhsa_user_sgpr_queue_ptr 0
		.amdhsa_user_sgpr_kernarg_segment_ptr 1
		.amdhsa_user_sgpr_dispatch_id 0
		.amdhsa_user_sgpr_flat_scratch_init 0
		.amdhsa_user_sgpr_private_segment_size 0
		.amdhsa_uses_dynamic_stack 0
		.amdhsa_system_sgpr_private_segment_wavefront_offset 0
		.amdhsa_system_sgpr_workgroup_id_x 1
		.amdhsa_system_sgpr_workgroup_id_y 0
		.amdhsa_system_sgpr_workgroup_id_z 0
		.amdhsa_system_sgpr_workgroup_info 0
		.amdhsa_system_vgpr_workitem_id 0
		.amdhsa_next_free_vgpr 23
		.amdhsa_next_free_sgpr 32
		.amdhsa_reserve_vcc 1
		.amdhsa_reserve_flat_scratch 0
		.amdhsa_float_round_mode_32 0
		.amdhsa_float_round_mode_16_64 0
		.amdhsa_float_denorm_mode_32 3
		.amdhsa_float_denorm_mode_16_64 3
		.amdhsa_dx10_clamp 1
		.amdhsa_ieee_mode 1
		.amdhsa_fp16_overflow 0
		.amdhsa_exception_fp_ieee_invalid_op 0
		.amdhsa_exception_fp_denorm_src 0
		.amdhsa_exception_fp_ieee_div_zero 0
		.amdhsa_exception_fp_ieee_overflow 0
		.amdhsa_exception_fp_ieee_underflow 0
		.amdhsa_exception_fp_ieee_inexact 0
		.amdhsa_exception_int_div_zero 0
	.end_amdhsa_kernel
	.text
.Lfunc_end0:
	.size	fft_rtc_back_len125_factors_5_5_5_wgs_250_tpt_25_half_op_CI_CI_sbrc_z_xy_unaligned, .Lfunc_end0-fft_rtc_back_len125_factors_5_5_5_wgs_250_tpt_25_half_op_CI_CI_sbrc_z_xy_unaligned
                                        ; -- End function
	.section	.AMDGPU.csdata,"",@progbits
; Kernel info:
; codeLenInByte = 3088
; NumSgprs: 36
; NumVgprs: 23
; ScratchSize: 0
; MemoryBound: 0
; FloatMode: 240
; IeeeMode: 1
; LDSByteSize: 0 bytes/workgroup (compile time only)
; SGPRBlocks: 4
; VGPRBlocks: 5
; NumSGPRsForWavesPerEU: 36
; NumVGPRsForWavesPerEU: 23
; Occupancy: 10
; WaveLimiterHint : 1
; COMPUTE_PGM_RSRC2:SCRATCH_EN: 0
; COMPUTE_PGM_RSRC2:USER_SGPR: 6
; COMPUTE_PGM_RSRC2:TRAP_HANDLER: 0
; COMPUTE_PGM_RSRC2:TGID_X_EN: 1
; COMPUTE_PGM_RSRC2:TGID_Y_EN: 0
; COMPUTE_PGM_RSRC2:TGID_Z_EN: 0
; COMPUTE_PGM_RSRC2:TIDIG_COMP_CNT: 0
	.type	__hip_cuid_cad226e5d74d7822,@object ; @__hip_cuid_cad226e5d74d7822
	.section	.bss,"aw",@nobits
	.globl	__hip_cuid_cad226e5d74d7822
__hip_cuid_cad226e5d74d7822:
	.byte	0                               ; 0x0
	.size	__hip_cuid_cad226e5d74d7822, 1

	.ident	"AMD clang version 19.0.0git (https://github.com/RadeonOpenCompute/llvm-project roc-6.4.0 25133 c7fe45cf4b819c5991fe208aaa96edf142730f1d)"
	.section	".note.GNU-stack","",@progbits
	.addrsig
	.addrsig_sym __hip_cuid_cad226e5d74d7822
	.amdgpu_metadata
---
amdhsa.kernels:
  - .args:
      - .actual_access:  read_only
        .address_space:  global
        .offset:         0
        .size:           8
        .value_kind:     global_buffer
      - .offset:         8
        .size:           8
        .value_kind:     by_value
      - .actual_access:  read_only
        .address_space:  global
        .offset:         16
        .size:           8
        .value_kind:     global_buffer
      - .actual_access:  read_only
        .address_space:  global
        .offset:         24
        .size:           8
        .value_kind:     global_buffer
      - .actual_access:  read_only
        .address_space:  global
        .offset:         32
        .size:           8
        .value_kind:     global_buffer
      - .offset:         40
        .size:           8
        .value_kind:     by_value
      - .actual_access:  read_only
        .address_space:  global
        .offset:         48
        .size:           8
        .value_kind:     global_buffer
      - .actual_access:  read_only
        .address_space:  global
        .offset:         56
        .size:           8
        .value_kind:     global_buffer
      - .offset:         64
        .size:           4
        .value_kind:     by_value
      - .actual_access:  read_only
        .address_space:  global
        .offset:         72
        .size:           8
        .value_kind:     global_buffer
      - .actual_access:  read_only
        .address_space:  global
        .offset:         80
        .size:           8
        .value_kind:     global_buffer
      - .actual_access:  read_only
        .address_space:  global
        .offset:         88
        .size:           8
        .value_kind:     global_buffer
      - .actual_access:  write_only
        .address_space:  global
        .offset:         96
        .size:           8
        .value_kind:     global_buffer
    .group_segment_fixed_size: 0
    .kernarg_segment_align: 8
    .kernarg_segment_size: 104
    .language:       OpenCL C
    .language_version:
      - 2
      - 0
    .max_flat_workgroup_size: 250
    .name:           fft_rtc_back_len125_factors_5_5_5_wgs_250_tpt_25_half_op_CI_CI_sbrc_z_xy_unaligned
    .private_segment_fixed_size: 0
    .sgpr_count:     36
    .sgpr_spill_count: 0
    .symbol:         fft_rtc_back_len125_factors_5_5_5_wgs_250_tpt_25_half_op_CI_CI_sbrc_z_xy_unaligned.kd
    .uniform_work_group_size: 1
    .uses_dynamic_stack: false
    .vgpr_count:     23
    .vgpr_spill_count: 0
    .wavefront_size: 64
amdhsa.target:   amdgcn-amd-amdhsa--gfx906
amdhsa.version:
  - 1
  - 2
...

	.end_amdgpu_metadata
